;; amdgpu-corpus repo=ROCm/rocFFT kind=compiled arch=gfx906 opt=O3
	.text
	.amdgcn_target "amdgcn-amd-amdhsa--gfx906"
	.amdhsa_code_object_version 6
	.protected	fft_rtc_back_len52_factors_4_13_wgs_117_tpt_13_halfLds_dim1_sp_op_CI_CI_unitstride_sbrr_R2C_dirReg ; -- Begin function fft_rtc_back_len52_factors_4_13_wgs_117_tpt_13_halfLds_dim1_sp_op_CI_CI_unitstride_sbrr_R2C_dirReg
	.globl	fft_rtc_back_len52_factors_4_13_wgs_117_tpt_13_halfLds_dim1_sp_op_CI_CI_unitstride_sbrr_R2C_dirReg
	.p2align	8
	.type	fft_rtc_back_len52_factors_4_13_wgs_117_tpt_13_halfLds_dim1_sp_op_CI_CI_unitstride_sbrr_R2C_dirReg,@function
fft_rtc_back_len52_factors_4_13_wgs_117_tpt_13_halfLds_dim1_sp_op_CI_CI_unitstride_sbrr_R2C_dirReg: ; @fft_rtc_back_len52_factors_4_13_wgs_117_tpt_13_halfLds_dim1_sp_op_CI_CI_unitstride_sbrr_R2C_dirReg
; %bb.0:
	v_mul_u32_u24_e32 v1, 0x13b2, v0
	v_lshrrev_b32_e32 v1, 16, v1
	v_mad_u64_u32 v[22:23], s[0:1], s6, 9, v[1:2]
	s_mov_b32 s0, 0x38e38e39
	v_mov_b32_e32 v23, 0
	v_mul_hi_u32 v2, v22, s0
	s_load_dwordx2 s[0:1], s[4:5], 0x20
	s_movk_i32 s2, 0x13b2
                                        ; implicit-def: $vgpr21
                                        ; implicit-def: $vgpr20
	v_lshrrev_b32_e32 v2, 1, v2
	v_lshl_add_u32 v2, v2, 3, v2
	s_waitcnt lgkmcnt(0)
	v_cmp_gt_u64_e32 vcc, s[0:1], v[22:23]
	v_cmp_le_u64_e64 s[0:1], s[0:1], v[22:23]
	v_sub_u32_e32 v2, v22, v2
	s_and_saveexec_b64 s[6:7], s[0:1]
	s_xor_b64 s[0:1], exec, s[6:7]
; %bb.1:
	v_mul_u32_u24_sdwa v1, v0, s2 dst_sel:DWORD dst_unused:UNUSED_PAD src0_sel:WORD_0 src1_sel:DWORD
	v_mov_b32_e32 v3, 13
	v_mul_lo_u16_sdwa v1, v1, v3 dst_sel:DWORD dst_unused:UNUSED_PAD src0_sel:WORD_1 src1_sel:DWORD
	v_sub_u16_e32 v21, v0, v1
	v_sub_u16_e32 v20, v0, v1
                                        ; implicit-def: $vgpr1
                                        ; implicit-def: $vgpr0
; %bb.2:
	s_or_saveexec_b64 s[2:3], s[0:1]
	s_load_dwordx2 s[6:7], s[4:5], 0x18
	v_mul_u32_u24_e32 v2, 53, v2
	v_lshlrev_b32_e32 v2, 3, v2
                                        ; implicit-def: $vgpr23
	s_xor_b64 exec, exec, s[2:3]
	s_cbranch_execz .LBB0_4
; %bb.3:
	s_load_dwordx2 s[0:1], s[4:5], 0x10
	v_mul_lo_u16_e32 v13, 13, v1
	v_sub_u16_e32 v20, v0, v13
	v_sub_u16_e32 v21, v0, v13
	v_mov_b32_e32 v23, v20
	s_waitcnt lgkmcnt(0)
	s_load_dwordx2 s[0:1], s[0:1], 0x8
	s_waitcnt lgkmcnt(0)
	v_mad_u64_u32 v[3:4], s[8:9], s0, v22, 0
	s_load_dwordx2 s[8:9], s[4:5], 0x50
	v_mov_b32_e32 v1, v4
	v_mad_u64_u32 v[4:5], s[0:1], s1, v22, v[1:2]
	s_waitcnt lgkmcnt(0)
	v_mov_b32_e32 v5, s9
	v_lshlrev_b32_e32 v1, 3, v20
	v_lshlrev_b64 v[3:4], 3, v[3:4]
	v_add3_u32 v0, 0, v2, v1
	v_add_co_u32_e64 v3, s[0:1], s8, v3
	v_addc_co_u32_e64 v4, s[0:1], v5, v4, s[0:1]
	v_add_co_u32_e64 v3, s[0:1], v3, v1
	v_addc_co_u32_e64 v4, s[0:1], 0, v4, s[0:1]
	global_load_dwordx2 v[5:6], v[3:4], off
	global_load_dwordx2 v[7:8], v[3:4], off offset:104
	global_load_dwordx2 v[9:10], v[3:4], off offset:208
	global_load_dwordx2 v[11:12], v[3:4], off offset:312
	s_waitcnt vmcnt(2)
	ds_write2_b64 v0, v[5:6], v[7:8] offset1:13
	s_waitcnt vmcnt(0)
	ds_write2_b64 v0, v[9:10], v[11:12] offset0:26 offset1:39
.LBB0_4:
	s_or_b64 exec, exec, s[2:3]
	v_lshlrev_b32_e32 v32, 3, v20
	v_add_u32_e32 v30, 0, v2
	v_add3_u32 v33, 0, v32, v2
	s_waitcnt lgkmcnt(0)
	s_load_dwordx2 s[2:3], s[6:7], 0x8
	s_waitcnt lgkmcnt(0)
	s_barrier
	v_add_u32_e32 v31, v30, v32
	ds_read2_b64 v[0:3], v33 offset0:13 offset1:26
	ds_read_b64 v[4:5], v31
	ds_read_b64 v[6:7], v33 offset:312
	s_load_dwordx2 s[6:7], s[4:5], 0x0
	v_cmp_gt_u16_e64 s[0:1], 4, v21
	s_waitcnt lgkmcnt(0)
	v_sub_f32_e32 v2, v4, v2
	v_sub_f32_e32 v3, v5, v3
	;; [unrolled: 1-line block ×4, first 2 shown]
	v_fma_f32 v4, v4, 2.0, -v2
	v_fma_f32 v5, v5, 2.0, -v3
	v_fma_f32 v0, v0, 2.0, -v6
	v_fma_f32 v1, v1, 2.0, -v7
	v_sub_f32_e32 v26, v4, v0
	v_sub_f32_e32 v27, v5, v1
	v_add_f32_e32 v0, v2, v7
	v_sub_f32_e32 v1, v3, v6
	v_fma_f32 v24, v4, 2.0, -v26
	v_fma_f32 v25, v5, 2.0, -v27
	;; [unrolled: 1-line block ×4, first 2 shown]
	v_mad_u32_u24 v2, v20, 24, v33
	s_barrier
	ds_write2_b64 v2, v[24:25], v[28:29] offset1:1
	ds_write2_b64 v2, v[26:27], v[0:1] offset0:2 offset1:3
	s_waitcnt lgkmcnt(0)
	s_barrier
	s_waitcnt lgkmcnt(0)
                                        ; implicit-def: $vgpr19
                                        ; implicit-def: $vgpr15
                                        ; implicit-def: $vgpr7
                                        ; implicit-def: $vgpr11
                                        ; implicit-def: $vgpr3
	s_and_saveexec_b64 s[8:9], s[0:1]
	s_cbranch_execz .LBB0_6
; %bb.5:
	ds_read_b64 v[24:25], v31
	ds_read2_b64 v[34:37], v33 offset0:4 offset1:8
	ds_read2_b64 v[0:3], v33 offset0:12 offset1:16
	;; [unrolled: 1-line block ×6, first 2 shown]
	s_waitcnt lgkmcnt(5)
	v_mov_b32_e32 v27, v37
	v_mov_b32_e32 v26, v36
	;; [unrolled: 1-line block ×4, first 2 shown]
.LBB0_6:
	s_or_b64 exec, exec, s[8:9]
	s_waitcnt lgkmcnt(0)
	s_barrier
	s_and_saveexec_b64 s[8:9], s[0:1]
	s_cbranch_execz .LBB0_8
; %bb.7:
	v_and_b32_e32 v34, 3, v20
	v_mul_u32_u24_e32 v34, 12, v34
	v_lshlrev_b32_e32 v58, 3, v34
	global_load_dwordx4 v[34:37], v58, s[6:7] offset:80
	global_load_dwordx4 v[38:41], v58, s[6:7] offset:64
	;; [unrolled: 1-line block ×4, first 2 shown]
	global_load_dwordx4 v[50:53], v58, s[6:7]
	global_load_dwordx4 v[54:57], v58, s[6:7] offset:16
	s_mov_b32 s0, 0xbf788fa5
	s_mov_b32 s1, 0x3f62ad3f
	;; [unrolled: 1-line block ×6, first 2 shown]
	s_waitcnt vmcnt(5)
	v_mul_f32_e32 v58, v18, v37
	v_mul_f32_e32 v37, v19, v37
	v_mul_f32_e32 v59, v16, v35
	v_fma_f32 v58, v19, v36, -v58
	s_waitcnt vmcnt(1)
	v_mul_f32_e32 v66, v28, v51
	v_mul_f32_e32 v51, v29, v51
	;; [unrolled: 1-line block ×3, first 2 shown]
	v_fma_f32 v29, v29, v50, -v66
	v_mul_f32_e32 v35, v17, v35
	v_mul_f32_e32 v60, v14, v41
	;; [unrolled: 1-line block ×3, first 2 shown]
	s_waitcnt vmcnt(0)
	v_mul_f32_e32 v68, v2, v57
	v_mul_f32_e32 v57, v3, v57
	v_mul_f32_e32 v69, v0, v55
	v_fmac_f32_e32 v37, v18, v36
	v_fma_f32 v36, v17, v34, -v59
	v_fma_f32 v27, v27, v52, -v67
	v_add_f32_e32 v18, v29, v58
	v_mul_f32_e32 v41, v15, v41
	v_mul_f32_e32 v61, v12, v39
	;; [unrolled: 1-line block ×12, first 2 shown]
	v_fmac_f32_e32 v35, v16, v34
	v_fma_f32 v34, v15, v40, -v60
	v_fmac_f32_e32 v51, v28, v50
	v_fmac_f32_e32 v53, v26, v52
	v_fma_f32 v26, v3, v56, -v68
	v_fmac_f32_e32 v57, v2, v56
	v_fma_f32 v28, v1, v54, -v69
	v_add_f32_e32 v19, v27, v36
	v_mul_f32_e32 v56, 0xbf788fa5, v18
	v_fmac_f32_e32 v41, v14, v40
	v_fma_f32 v40, v13, v38, -v61
	v_fmac_f32_e32 v39, v12, v38
	v_fma_f32 v38, v9, v42, -v62
	;; [unrolled: 2-line block ×5, first 2 shown]
	v_fmac_f32_e32 v47, v4, v46
	v_fmac_f32_e32 v55, v0, v54
	v_sub_f32_e32 v6, v51, v37
	v_add_f32_e32 v46, v28, v34
	v_mul_f32_e32 v59, 0x3f62ad3f, v19
	v_mov_b32_e32 v0, v56
	v_sub_f32_e32 v2, v53, v35
	v_add_f32_e32 v50, v26, v40
	v_sub_f32_e32 v54, v29, v58
	v_mul_f32_e32 v60, 0xbf3f9e67, v46
	v_mov_b32_e32 v1, v59
	v_fmac_f32_e32 v0, 0x3e750f2a, v6
	v_sub_f32_e32 v3, v55, v41
	v_mul_f32_e32 v61, 0x3f116cb1, v50
	v_mul_f32_e32 v63, 0xbe750f2a, v54
	v_mov_b32_e32 v9, v60
	v_fmac_f32_e32 v1, 0xbeedf032, v2
	v_add_f32_e32 v0, v25, v0
	v_sub_f32_e32 v64, v27, v36
	v_sub_f32_e32 v4, v57, v39
	v_add_f32_e32 v8, v51, v37
	v_mov_b32_e32 v10, v61
	v_mov_b32_e32 v12, v63
	v_fmac_f32_e32 v9, 0x3f29c268, v3
	v_add_f32_e32 v0, v1, v0
	v_mul_f32_e32 v65, 0x3eedf032, v64
	v_sub_f32_e32 v66, v28, v34
	v_add_f32_e32 v7, v53, v35
	v_fmac_f32_e32 v10, 0xbf52af12, v4
	v_fmac_f32_e32 v12, 0xbf788fa5, v8
	v_add_f32_e32 v0, v9, v0
	v_mov_b32_e32 v1, v65
	v_mul_f32_e32 v67, 0xbf29c268, v66
	v_add_f32_e32 v12, v24, v12
	v_add_f32_e32 v0, v10, v0
	v_fmac_f32_e32 v1, 0x3f62ad3f, v7
	v_add_f32_e32 v9, v55, v41
	v_mov_b32_e32 v10, v67
	v_sub_f32_e32 v69, v26, v40
	v_add_f32_e32 v1, v1, v12
	v_fmac_f32_e32 v10, 0xbf3f9e67, v9
	v_mul_f32_e32 v70, 0x3f52af12, v69
	v_add_f32_e32 v1, v10, v1
	v_add_f32_e32 v68, v57, v39
	v_mov_b32_e32 v10, v70
	v_sub_f32_e32 v72, v38, v44
	v_add_f32_e32 v52, v38, v44
	v_fmac_f32_e32 v10, 0x3f116cb1, v68
	v_mul_f32_e32 v73, 0xbf6f5d39, v72
	v_mul_f32_e32 v62, 0xbeb58ec6, v52
	v_add_f32_e32 v1, v10, v1
	v_add_f32_e32 v71, v43, v49
	v_mov_b32_e32 v10, v73
	v_add_f32_e32 v74, v42, v48
	v_sub_f32_e32 v5, v43, v49
	v_mov_b32_e32 v11, v62
	v_fmac_f32_e32 v10, 0xbeb58ec6, v71
	v_mul_f32_e32 v75, 0x3df6dbef, v74
	v_fmac_f32_e32 v11, 0x3f6f5d39, v5
	v_add_f32_e32 v10, v10, v1
	v_sub_f32_e32 v76, v45, v47
	v_mov_b32_e32 v1, v75
	v_sub_f32_e32 v78, v42, v48
	v_add_f32_e32 v0, v11, v0
	v_fmac_f32_e32 v1, 0xbf7e222b, v76
	v_mul_f32_e32 v79, 0x3f7e222b, v78
	v_add_f32_e32 v1, v1, v0
	v_add_f32_e32 v77, v45, v47
	v_mov_b32_e32 v0, v79
	v_fmac_f32_e32 v0, 0x3df6dbef, v77
	v_mul_f32_e32 v80, 0xbf3f9e67, v18
	v_add_f32_e32 v0, v0, v10
	v_mov_b32_e32 v10, v80
	v_mul_f32_e32 v81, 0x3df6dbef, v19
	v_fmac_f32_e32 v10, 0x3f29c268, v6
	v_mov_b32_e32 v11, v81
	v_add_f32_e32 v10, v25, v10
	v_fmac_f32_e32 v11, 0xbf7e222b, v2
	v_mul_f32_e32 v82, 0x3f116cb1, v46
	v_add_f32_e32 v10, v11, v10
	v_mov_b32_e32 v11, v82
	v_fmac_f32_e32 v11, 0x3f52af12, v3
	v_mul_f32_e32 v83, 0xbf788fa5, v50
	v_add_f32_e32 v10, v11, v10
	v_mov_b32_e32 v11, v83
	v_fmac_f32_e32 v11, 0xbe750f2a, v4
	v_mul_f32_e32 v84, 0x3f62ad3f, v52
	v_add_f32_e32 v10, v11, v10
	v_mov_b32_e32 v11, v84
	v_fmac_f32_e32 v11, 0xbeedf032, v5
	v_mul_f32_e32 v85, 0xbf29c268, v54
	v_add_f32_e32 v10, v11, v10
	v_mov_b32_e32 v11, v85
	v_mul_f32_e32 v86, 0x3f7e222b, v64
	v_fmac_f32_e32 v11, 0xbf3f9e67, v8
	v_mov_b32_e32 v12, v86
	v_add_f32_e32 v11, v24, v11
	v_fmac_f32_e32 v12, 0x3df6dbef, v7
	v_mul_f32_e32 v87, 0xbf52af12, v66
	v_add_f32_e32 v11, v12, v11
	v_mov_b32_e32 v12, v87
	v_fmac_f32_e32 v12, 0x3f116cb1, v9
	v_mul_f32_e32 v88, 0x3e750f2a, v69
	v_add_f32_e32 v11, v12, v11
	v_mov_b32_e32 v12, v88
	v_fmac_f32_e32 v12, 0xbf788fa5, v68
	v_mul_f32_e32 v89, 0x3eedf032, v72
	v_add_f32_e32 v11, v12, v11
	v_mov_b32_e32 v12, v89
	v_fmac_f32_e32 v12, 0x3f62ad3f, v71
	v_mul_f32_e32 v90, 0xbeb58ec6, v74
	v_add_f32_e32 v12, v12, v11
	v_mov_b32_e32 v11, v90
	v_fmac_f32_e32 v11, 0x3f6f5d39, v76
	v_mul_f32_e32 v91, 0xbf6f5d39, v78
	v_add_f32_e32 v11, v11, v10
	v_mov_b32_e32 v10, v91
	v_fmac_f32_e32 v10, 0xbeb58ec6, v77
	v_mul_f32_e32 v92, 0xbeb58ec6, v18
	v_add_f32_e32 v10, v10, v12
	v_mov_b32_e32 v12, v92
	v_mul_f32_e32 v93, 0xbf3f9e67, v19
	v_fmac_f32_e32 v12, 0x3f6f5d39, v6
	v_mov_b32_e32 v13, v93
	v_add_f32_e32 v12, v25, v12
	v_fmac_f32_e32 v13, 0xbf29c268, v2
	v_mul_f32_e32 v94, 0x3f62ad3f, v46
	v_add_f32_e32 v12, v13, v12
	v_mov_b32_e32 v13, v94
	v_fmac_f32_e32 v13, 0xbeedf032, v3
	v_mul_f32_e32 v95, 0x3df6dbef, v50
	v_add_f32_e32 v12, v13, v12
	v_mov_b32_e32 v13, v95
	v_fmac_f32_e32 v13, 0x3f7e222b, v4
	v_mul_f32_e32 v96, 0xbf788fa5, v52
	v_add_f32_e32 v12, v13, v12
	v_mov_b32_e32 v13, v96
	v_fmac_f32_e32 v13, 0xbe750f2a, v5
	v_mul_f32_e32 v97, 0xbf6f5d39, v54
	v_add_f32_e32 v12, v13, v12
	v_mov_b32_e32 v13, v97
	v_mul_f32_e32 v98, 0x3f29c268, v64
	v_fmac_f32_e32 v13, 0xbeb58ec6, v8
	v_mov_b32_e32 v14, v98
	v_add_f32_e32 v13, v24, v13
	v_fmac_f32_e32 v14, 0xbf3f9e67, v7
	v_mul_f32_e32 v99, 0x3eedf032, v66
	v_add_f32_e32 v13, v14, v13
	v_mov_b32_e32 v14, v99
	v_fmac_f32_e32 v14, 0x3f62ad3f, v9
	v_mul_f32_e32 v100, 0xbf7e222b, v69
	v_add_f32_e32 v13, v14, v13
	v_mov_b32_e32 v14, v100
	v_fmac_f32_e32 v14, 0x3df6dbef, v68
	v_mul_f32_e32 v101, 0x3e750f2a, v72
	v_add_f32_e32 v13, v14, v13
	v_mov_b32_e32 v14, v101
	v_fmac_f32_e32 v14, 0xbf788fa5, v71
	v_mul_f32_e32 v102, 0x3f116cb1, v74
	v_add_f32_e32 v14, v14, v13
	v_mov_b32_e32 v13, v102
	v_fmac_f32_e32 v13, 0xbf52af12, v76
	v_mul_f32_e32 v103, 0x3f52af12, v78
	v_add_f32_e32 v13, v13, v12
	v_mov_b32_e32 v12, v103
	v_fmac_f32_e32 v12, 0x3f116cb1, v77
	v_mul_f32_e32 v104, 0x3df6dbef, v18
	v_add_f32_e32 v12, v12, v14
	v_mov_b32_e32 v14, v104
	v_mul_f32_e32 v105, 0xbf788fa5, v19
	v_fmac_f32_e32 v14, 0x3f7e222b, v6
	v_mov_b32_e32 v15, v105
	v_add_f32_e32 v14, v25, v14
	v_fmac_f32_e32 v15, 0x3e750f2a, v2
	v_mul_f32_e32 v106, 0xbeb58ec6, v46
	v_add_f32_e32 v14, v15, v14
	v_mov_b32_e32 v15, v106
	v_fmac_f32_e32 v15, 0xbf6f5d39, v3
	v_mul_f32_e32 v107, 0x3f62ad3f, v50
	v_add_f32_e32 v14, v15, v14
	v_mov_b32_e32 v15, v107
	v_fmac_f32_e32 v15, 0xbeedf032, v4
	v_mul_f32_e32 v108, 0x3f116cb1, v52
	v_add_f32_e32 v14, v15, v14
	v_mov_b32_e32 v15, v108
	v_fmac_f32_e32 v15, 0x3f52af12, v5
	v_mul_f32_e32 v109, 0xbf7e222b, v54
	v_add_f32_e32 v14, v15, v14
	v_mov_b32_e32 v15, v109
	v_mul_f32_e32 v110, 0xbe750f2a, v64
	v_fmac_f32_e32 v15, 0x3df6dbef, v8
	v_mov_b32_e32 v16, v110
	v_add_f32_e32 v15, v24, v15
	v_fmac_f32_e32 v16, 0xbf788fa5, v7
	v_mul_f32_e32 v111, 0x3f6f5d39, v66
	v_add_f32_e32 v15, v16, v15
	v_mov_b32_e32 v16, v111
	v_fmac_f32_e32 v16, 0xbeb58ec6, v9
	v_mul_f32_e32 v112, 0x3eedf032, v69
	v_add_f32_e32 v15, v16, v15
	v_mov_b32_e32 v16, v112
	v_fmac_f32_e32 v16, 0x3f62ad3f, v68
	v_mul_f32_e32 v113, 0xbf52af12, v72
	v_add_f32_e32 v15, v16, v15
	v_mov_b32_e32 v16, v113
	v_fmac_f32_e32 v16, 0x3f116cb1, v71
	v_mul_f32_e32 v114, 0xbf3f9e67, v74
	v_add_f32_e32 v16, v16, v15
	v_mov_b32_e32 v15, v114
	v_fmac_f32_e32 v15, 0x3f29c268, v76
	v_mul_f32_e32 v115, 0xbf29c268, v78
	v_add_f32_e32 v15, v15, v14
	v_mov_b32_e32 v14, v115
	v_fmac_f32_e32 v14, 0xbf3f9e67, v77
	v_mul_f32_e32 v116, 0x3f116cb1, v18
	v_add_f32_e32 v14, v14, v16
	v_mov_b32_e32 v16, v116
	v_mul_f32_e32 v117, 0xbeb58ec6, v19
	v_fmac_f32_e32 v16, 0x3f52af12, v6
	v_mov_b32_e32 v17, v117
	v_add_f32_e32 v16, v25, v16
	v_fmac_f32_e32 v17, 0x3f6f5d39, v2
	v_mul_f32_e32 v118, 0xbf788fa5, v46
	v_add_f32_e32 v16, v17, v16
	v_mov_b32_e32 v17, v118
	v_fmac_f32_e32 v17, 0x3e750f2a, v3
	v_mul_f32_e32 v119, 0xbf3f9e67, v50
	v_add_f32_e32 v29, v25, v29
	v_add_f32_e32 v16, v17, v16
	v_mov_b32_e32 v17, v119
	v_add_f32_e32 v27, v29, v27
	v_fmac_f32_e32 v17, 0xbf29c268, v4
	v_mul_f32_e32 v120, 0x3df6dbef, v52
	v_add_f32_e32 v27, v27, v28
	v_add_f32_e32 v16, v17, v16
	v_mov_b32_e32 v17, v120
	v_add_f32_e32 v26, v27, v26
	v_add_f32_e32 v27, v24, v51
	v_fmac_f32_e32 v17, 0xbf7e222b, v5
	v_mul_f32_e32 v121, 0xbf52af12, v54
	v_add_f32_e32 v27, v27, v53
	v_add_f32_e32 v16, v17, v16
	v_mov_b32_e32 v17, v121
	v_mul_f32_e32 v122, 0xbf6f5d39, v64
	v_add_f32_e32 v27, v27, v55
	v_fmac_f32_e32 v17, 0x3f116cb1, v8
	v_mov_b32_e32 v123, v122
	v_add_f32_e32 v27, v27, v57
	v_add_f32_e32 v17, v24, v17
	v_fmac_f32_e32 v123, 0xbeb58ec6, v7
	v_add_f32_e32 v26, v26, v38
	v_add_f32_e32 v27, v27, v43
	;; [unrolled: 1-line block ×3, first 2 shown]
	v_mul_f32_e32 v123, 0xbe750f2a, v66
	v_add_f32_e32 v26, v26, v42
	v_add_f32_e32 v27, v27, v45
	v_mov_b32_e32 v124, v123
	v_add_f32_e32 v26, v26, v48
	v_add_f32_e32 v27, v27, v47
	v_fmac_f32_e32 v124, 0xbf788fa5, v9
	v_add_f32_e32 v26, v26, v44
	v_add_f32_e32 v27, v27, v49
	;; [unrolled: 1-line block ×3, first 2 shown]
	v_mul_f32_e32 v124, 0x3f29c268, v69
	v_add_f32_e32 v26, v26, v40
	v_add_f32_e32 v27, v27, v39
	v_mov_b32_e32 v125, v124
	v_add_f32_e32 v26, v26, v34
	v_add_f32_e32 v27, v27, v41
	v_fmac_f32_e32 v125, 0xbf3f9e67, v68
	v_add_f32_e32 v26, v26, v36
	v_add_f32_e32 v28, v27, v35
	v_fmac_f32_e32 v56, 0xbe750f2a, v6
	v_add_f32_e32 v17, v125, v17
	v_mul_f32_e32 v125, 0x3f7e222b, v72
	v_add_f32_e32 v27, v26, v58
	v_add_f32_e32 v26, v28, v37
	;; [unrolled: 1-line block ×3, first 2 shown]
	v_fmac_f32_e32 v59, 0x3eedf032, v2
	v_fma_f32 v29, v8, s0, -v63
	v_mov_b32_e32 v126, v125
	v_add_f32_e32 v28, v59, v28
	v_fmac_f32_e32 v60, 0xbf29c268, v3
	v_add_f32_e32 v29, v24, v29
	v_fma_f32 v34, v7, s1, -v65
	v_fmac_f32_e32 v126, 0x3df6dbef, v71
	v_mul_f32_e32 v127, 0x3f62ad3f, v74
	v_add_f32_e32 v28, v60, v28
	v_fmac_f32_e32 v61, 0x3f52af12, v4
	v_add_f32_e32 v29, v34, v29
	v_fma_f32 v34, v9, s10, -v67
	v_add_f32_e32 v126, v126, v17
	v_mov_b32_e32 v17, v127
	v_add_f32_e32 v28, v61, v28
	v_fmac_f32_e32 v62, 0xbf6f5d39, v5
	v_add_f32_e32 v29, v34, v29
	v_fma_f32 v34, v68, s11, -v70
	v_fmac_f32_e32 v17, 0xbeedf032, v76
	v_mul_f32_e32 v128, 0x3eedf032, v78
	v_add_f32_e32 v28, v62, v28
	v_add_f32_e32 v29, v34, v29
	v_fma_f32 v34, v71, s12, -v73
	v_fmac_f32_e32 v75, 0x3f7e222b, v76
	v_add_f32_e32 v17, v17, v16
	v_mov_b32_e32 v16, v128
	v_add_f32_e32 v34, v34, v29
	v_add_f32_e32 v29, v75, v28
	v_fma_f32 v28, v77, s13, -v79
	v_fmac_f32_e32 v80, 0xbf29c268, v6
	v_fmac_f32_e32 v16, 0x3f62ad3f, v77
	v_add_f32_e32 v28, v28, v34
	v_add_f32_e32 v34, v25, v80
	v_fmac_f32_e32 v81, 0x3f7e222b, v2
	v_fma_f32 v35, v8, s10, -v85
	v_add_f32_e32 v16, v16, v126
	v_mul_f32_e32 v126, 0x3f62ad3f, v18
	v_add_f32_e32 v34, v81, v34
	v_fmac_f32_e32 v82, 0xbf52af12, v3
	v_add_f32_e32 v35, v24, v35
	v_fma_f32 v36, v7, s13, -v86
	v_mov_b32_e32 v18, v126
	v_mul_f32_e32 v129, 0x3f116cb1, v19
	v_add_f32_e32 v34, v82, v34
	v_fmac_f32_e32 v83, 0x3e750f2a, v4
	v_add_f32_e32 v35, v36, v35
	v_fma_f32 v36, v9, s11, -v87
	v_fmac_f32_e32 v18, 0x3eedf032, v6
	v_mov_b32_e32 v19, v129
	v_add_f32_e32 v34, v83, v34
	v_fmac_f32_e32 v84, 0x3eedf032, v5
	v_add_f32_e32 v35, v36, v35
	v_fma_f32 v36, v68, s0, -v88
	v_add_f32_e32 v18, v25, v18
	v_fmac_f32_e32 v19, 0x3f52af12, v2
	v_mul_f32_e32 v46, 0x3df6dbef, v46
	v_add_f32_e32 v34, v84, v34
	v_add_f32_e32 v35, v36, v35
	v_fma_f32 v36, v71, s1, -v89
	v_fmac_f32_e32 v90, 0xbf6f5d39, v76
	v_add_f32_e32 v18, v19, v18
	v_mov_b32_e32 v19, v46
	v_add_f32_e32 v36, v36, v35
	v_add_f32_e32 v35, v90, v34
	v_fma_f32 v34, v77, s12, -v91
	v_fmac_f32_e32 v92, 0xbf6f5d39, v6
	v_fmac_f32_e32 v19, 0x3f7e222b, v3
	v_mul_f32_e32 v50, 0xbeb58ec6, v50
	v_add_f32_e32 v34, v34, v36
	v_add_f32_e32 v36, v25, v92
	v_fmac_f32_e32 v93, 0x3f29c268, v2
	v_fma_f32 v37, v8, s12, -v97
	v_add_f32_e32 v18, v19, v18
	v_mov_b32_e32 v19, v50
	v_add_f32_e32 v36, v93, v36
	v_fmac_f32_e32 v94, 0x3eedf032, v3
	v_add_f32_e32 v37, v24, v37
	v_fma_f32 v38, v7, s10, -v98
	v_fmac_f32_e32 v19, 0x3f6f5d39, v4
	v_mul_f32_e32 v52, 0xbf3f9e67, v52
	v_add_f32_e32 v36, v94, v36
	v_fmac_f32_e32 v95, 0xbf7e222b, v4
	v_add_f32_e32 v37, v38, v37
	v_fma_f32 v38, v9, s1, -v99
	v_add_f32_e32 v18, v19, v18
	v_mov_b32_e32 v19, v52
	v_add_f32_e32 v36, v95, v36
	v_fmac_f32_e32 v96, 0x3e750f2a, v5
	v_add_f32_e32 v37, v38, v37
	v_fma_f32 v38, v68, s13, -v100
	v_fmac_f32_e32 v19, 0x3f29c268, v5
	v_mul_f32_e32 v54, 0xbeedf032, v54
	v_add_f32_e32 v36, v96, v36
	v_add_f32_e32 v37, v38, v37
	v_fma_f32 v38, v71, s0, -v101
	v_fmac_f32_e32 v102, 0x3f52af12, v76
	v_add_f32_e32 v18, v19, v18
	v_mov_b32_e32 v19, v54
	v_mul_f32_e32 v64, 0xbf52af12, v64
	v_add_f32_e32 v38, v38, v37
	v_add_f32_e32 v37, v102, v36
	v_fma_f32 v36, v77, s11, -v103
	v_fmac_f32_e32 v104, 0xbf7e222b, v6
	v_fmac_f32_e32 v19, 0x3f62ad3f, v8
	v_mov_b32_e32 v130, v64
	v_add_f32_e32 v36, v36, v38
	v_add_f32_e32 v38, v25, v104
	v_fmac_f32_e32 v105, 0xbe750f2a, v2
	v_fma_f32 v39, v8, s13, -v109
	v_add_f32_e32 v19, v24, v19
	v_fmac_f32_e32 v130, 0x3f116cb1, v7
	v_mul_f32_e32 v66, 0xbf7e222b, v66
	v_add_f32_e32 v38, v105, v38
	v_fmac_f32_e32 v106, 0x3f6f5d39, v3
	v_add_f32_e32 v39, v24, v39
	v_fma_f32 v40, v7, s0, -v110
	v_add_f32_e32 v19, v130, v19
	v_mov_b32_e32 v130, v66
	v_add_f32_e32 v38, v106, v38
	v_fmac_f32_e32 v107, 0x3eedf032, v4
	v_add_f32_e32 v39, v40, v39
	v_fma_f32 v40, v9, s12, -v111
	v_fmac_f32_e32 v130, 0x3df6dbef, v9
	v_mul_f32_e32 v69, 0xbf6f5d39, v69
	v_add_f32_e32 v38, v107, v38
	v_fmac_f32_e32 v108, 0xbf52af12, v5
	v_add_f32_e32 v39, v40, v39
	v_fma_f32 v40, v68, s1, -v112
	v_add_f32_e32 v19, v130, v19
	v_mov_b32_e32 v130, v69
	v_add_f32_e32 v38, v108, v38
	v_add_f32_e32 v39, v40, v39
	v_fma_f32 v40, v71, s11, -v113
	v_fmac_f32_e32 v114, 0xbf29c268, v76
	v_fmac_f32_e32 v130, 0xbeb58ec6, v68
	v_mul_f32_e32 v72, 0xbf29c268, v72
	v_add_f32_e32 v40, v40, v39
	v_add_f32_e32 v39, v114, v38
	v_fma_f32 v38, v77, s10, -v115
	v_fmac_f32_e32 v116, 0xbf52af12, v6
	v_add_f32_e32 v19, v130, v19
	v_mov_b32_e32 v130, v72
	v_add_f32_e32 v38, v38, v40
	v_add_f32_e32 v40, v25, v116
	v_fmac_f32_e32 v117, 0xbf6f5d39, v2
	v_fma_f32 v41, v8, s11, -v121
	v_fmac_f32_e32 v126, 0xbeedf032, v6
	v_fma_f32 v6, v8, s1, -v54
	v_fmac_f32_e32 v130, 0xbf3f9e67, v71
	v_mul_f32_e32 v74, 0xbf788fa5, v74
	v_add_f32_e32 v40, v117, v40
	v_fmac_f32_e32 v118, 0xbe750f2a, v3
	v_add_f32_e32 v41, v24, v41
	v_fma_f32 v42, v7, s12, -v122
	v_add_f32_e32 v8, v25, v126
	v_add_f32_e32 v6, v24, v6
	v_fmac_f32_e32 v129, 0xbf52af12, v2
	v_fmac_f32_e32 v46, 0xbf7e222b, v3
	v_fma_f32 v3, v7, s11, -v64
	v_add_f32_e32 v130, v130, v19
	v_mov_b32_e32 v19, v74
	v_add_f32_e32 v40, v118, v40
	v_fmac_f32_e32 v119, 0x3f29c268, v4
	v_add_f32_e32 v41, v42, v41
	v_fma_f32 v42, v9, s0, -v123
	v_add_f32_e32 v2, v129, v8
	v_fmac_f32_e32 v50, 0xbf6f5d39, v4
	v_add_f32_e32 v3, v3, v6
	v_fma_f32 v4, v9, s13, -v66
	v_fmac_f32_e32 v19, 0x3e750f2a, v76
	v_mul_f32_e32 v78, 0xbe750f2a, v78
	v_add_f32_e32 v40, v119, v40
	v_fmac_f32_e32 v120, 0x3f7e222b, v5
	v_add_f32_e32 v41, v42, v41
	v_fma_f32 v42, v68, s10, -v124
	v_add_f32_e32 v2, v46, v2
	v_add_f32_e32 v3, v4, v3
	v_fma_f32 v4, v68, s12, -v69
	v_add_f32_e32 v19, v19, v18
	v_mov_b32_e32 v18, v78
	v_add_f32_e32 v40, v120, v40
	v_add_f32_e32 v41, v42, v41
	v_fma_f32 v42, v71, s13, -v125
	v_fmac_f32_e32 v127, 0x3eedf032, v76
	v_add_f32_e32 v2, v50, v2
	v_fmac_f32_e32 v52, 0xbf29c268, v5
	v_add_f32_e32 v3, v4, v3
	v_fma_f32 v4, v71, s10, -v72
	v_fmac_f32_e32 v18, 0xbf788fa5, v77
	v_add_f32_e32 v42, v42, v41
	v_add_f32_e32 v41, v127, v40
	v_fma_f32 v40, v77, s1, -v128
	v_add_f32_e32 v2, v52, v2
	v_fmac_f32_e32 v74, 0xbe750f2a, v76
	v_add_f32_e32 v4, v4, v3
	v_fma_f32 v5, v77, s0, -v78
	v_add_f32_e32 v18, v18, v130
	v_add_f32_e32 v40, v40, v42
	;; [unrolled: 1-line block ×4, first 2 shown]
	ds_write_b64 v31, v[26:27]
	ds_write2_b64 v33, v[18:19], v[16:17] offset0:4 offset1:8
	ds_write2_b64 v33, v[14:15], v[12:13] offset0:12 offset1:16
	;; [unrolled: 1-line block ×6, first 2 shown]
.LBB0_8:
	s_or_b64 exec, exec, s[8:9]
	s_waitcnt lgkmcnt(0)
	s_barrier
	ds_read_b64 v[2:3], v31
	v_sub_u32_e32 v4, v30, v32
	v_cmp_ne_u16_e64 s[0:1], 0, v21
                                        ; implicit-def: $vgpr0
                                        ; implicit-def: $vgpr5
                                        ; implicit-def: $vgpr6
	s_and_saveexec_b64 s[8:9], s[0:1]
	s_xor_b64 s[0:1], exec, s[8:9]
	s_cbranch_execz .LBB0_10
; %bb.9:
	v_mov_b32_e32 v0, 3
	v_lshlrev_b32_sdwa v0, v0, v21 dst_sel:DWORD dst_unused:UNUSED_PAD src0_sel:DWORD src1_sel:WORD_0
	global_load_dwordx2 v[7:8], v0, s[6:7] offset:384
	ds_read_b64 v[0:1], v4 offset:416
	s_waitcnt lgkmcnt(0)
	v_add_f32_e32 v9, v0, v2
	v_sub_f32_e32 v0, v2, v0
	v_add_f32_e32 v5, v1, v3
	v_sub_f32_e32 v1, v3, v1
	v_mul_f32_e32 v3, 0.5, v0
	v_mul_f32_e32 v2, 0.5, v5
	;; [unrolled: 1-line block ×3, first 2 shown]
	s_waitcnt vmcnt(0)
	v_mul_f32_e32 v1, v8, v3
	v_fma_f32 v6, v2, v8, v0
	v_fma_f32 v8, v2, v8, -v0
	v_fma_f32 v5, 0.5, v9, v1
	v_fma_f32 v0, v9, 0.5, -v1
	v_fma_f32 v6, -v7, v3, v6
	v_fmac_f32_e32 v5, v7, v2
	v_fma_f32 v0, -v7, v2, v0
	v_fma_f32 v1, -v7, v3, v8
                                        ; implicit-def: $vgpr2_vgpr3
.LBB0_10:
	s_andn2_saveexec_b64 s[0:1], s[0:1]
	s_cbranch_execz .LBB0_12
; %bb.11:
	ds_read_b32 v1, v30 offset:212
	s_waitcnt lgkmcnt(1)
	v_add_f32_e32 v5, v2, v3
	v_sub_f32_e32 v0, v2, v3
	v_mov_b32_e32 v6, 0
	s_waitcnt lgkmcnt(0)
	v_xor_b32_e32 v1, 0x80000000, v1
	ds_write_b32 v30, v1 offset:212
	v_mov_b32_e32 v1, 0
.LBB0_12:
	s_or_b64 exec, exec, s[0:1]
	v_mov_b32_e32 v21, 0
	s_add_u32 s0, s6, 0x180
	s_waitcnt lgkmcnt(0)
	v_lshlrev_b64 v[2:3], 3, v[20:21]
	s_addc_u32 s1, s7, 0
	v_mov_b32_e32 v7, s1
	v_add_co_u32_e64 v2, s[0:1], s0, v2
	v_addc_co_u32_e64 v3, s[0:1], v7, v3, s[0:1]
	global_load_dwordx2 v[2:3], v[2:3], off offset:104
	ds_write2_b32 v31, v5, v6 offset1:1
	ds_write_b64 v4, v[0:1] offset:416
	ds_read_b64 v[0:1], v31 offset:104
	ds_read_b64 v[5:6], v4 offset:312
	s_waitcnt lgkmcnt(0)
	v_add_f32_e32 v7, v0, v5
	v_sub_f32_e32 v0, v0, v5
	v_add_f32_e32 v8, v1, v6
	v_sub_f32_e32 v1, v1, v6
	v_mul_f32_e32 v0, 0.5, v0
	v_mul_f32_e32 v5, 0.5, v8
	;; [unrolled: 1-line block ×3, first 2 shown]
	s_waitcnt vmcnt(0)
	v_mul_f32_e32 v6, v3, v0
	v_fma_f32 v8, v5, v3, v1
	v_fma_f32 v1, v5, v3, -v1
	v_fma_f32 v3, 0.5, v7, v6
	v_fma_f32 v8, -v2, v0, v8
	v_fma_f32 v6, v7, 0.5, -v6
	v_fmac_f32_e32 v3, v2, v5
	v_fma_f32 v1, -v2, v0, v1
	v_fma_f32 v0, -v2, v5, v6
	ds_write2_b32 v31, v3, v8 offset0:26 offset1:27
	ds_write_b64 v4, v[0:1] offset:312
	s_waitcnt lgkmcnt(0)
	s_barrier
	s_and_saveexec_b64 s[0:1], vcc
	s_cbranch_execz .LBB0_15
; %bb.13:
	v_mad_u64_u32 v[0:1], s[0:1], s2, v22, 0
	s_load_dwordx2 s[0:1], s[4:5], 0x58
	v_mov_b32_e32 v24, v21
	v_mad_u64_u32 v[1:2], s[2:3], s3, v22, v[1:2]
	v_lshl_add_u32 v2, v23, 3, v30
	ds_read2_b64 v[3:6], v2 offset1:13
	v_lshlrev_b64 v[0:1], 3, v[0:1]
	s_waitcnt lgkmcnt(0)
	v_mov_b32_e32 v7, s1
	v_add_co_u32_e32 v0, vcc, s0, v0
	v_addc_co_u32_e32 v1, vcc, v7, v1, vcc
	v_lshlrev_b64 v[7:8], 3, v[23:24]
	v_add_u32_e32 v20, 13, v23
	v_add_co_u32_e32 v7, vcc, v0, v7
	v_addc_co_u32_e32 v8, vcc, v1, v8, vcc
	global_store_dwordx2 v[7:8], v[3:4], off
	v_lshlrev_b64 v[3:4], 3, v[20:21]
	v_add_u32_e32 v20, 26, v23
	v_add_co_u32_e32 v3, vcc, v0, v3
	v_addc_co_u32_e32 v4, vcc, v1, v4, vcc
	global_store_dwordx2 v[3:4], v[5:6], off
	ds_read2_b64 v[3:6], v2 offset0:26 offset1:39
	v_lshlrev_b64 v[7:8], 3, v[20:21]
	v_add_u32_e32 v20, 39, v23
	v_add_co_u32_e32 v7, vcc, v0, v7
	v_addc_co_u32_e32 v8, vcc, v1, v8, vcc
	s_waitcnt lgkmcnt(0)
	global_store_dwordx2 v[7:8], v[3:4], off
	v_lshlrev_b64 v[3:4], 3, v[20:21]
	v_add_co_u32_e32 v3, vcc, v0, v3
	v_addc_co_u32_e32 v4, vcc, v1, v4, vcc
	v_cmp_eq_u32_e32 vcc, 12, v23
	global_store_dwordx2 v[3:4], v[5:6], off
	s_and_b64 exec, exec, vcc
	s_cbranch_execz .LBB0_15
; %bb.14:
	ds_read_b64 v[2:3], v2 offset:320
	s_waitcnt lgkmcnt(0)
	global_store_dwordx2 v[0:1], v[2:3], off offset:416
.LBB0_15:
	s_endpgm
	.section	.rodata,"a",@progbits
	.p2align	6, 0x0
	.amdhsa_kernel fft_rtc_back_len52_factors_4_13_wgs_117_tpt_13_halfLds_dim1_sp_op_CI_CI_unitstride_sbrr_R2C_dirReg
		.amdhsa_group_segment_fixed_size 0
		.amdhsa_private_segment_fixed_size 0
		.amdhsa_kernarg_size 96
		.amdhsa_user_sgpr_count 6
		.amdhsa_user_sgpr_private_segment_buffer 1
		.amdhsa_user_sgpr_dispatch_ptr 0
		.amdhsa_user_sgpr_queue_ptr 0
		.amdhsa_user_sgpr_kernarg_segment_ptr 1
		.amdhsa_user_sgpr_dispatch_id 0
		.amdhsa_user_sgpr_flat_scratch_init 0
		.amdhsa_user_sgpr_private_segment_size 0
		.amdhsa_uses_dynamic_stack 0
		.amdhsa_system_sgpr_private_segment_wavefront_offset 0
		.amdhsa_system_sgpr_workgroup_id_x 1
		.amdhsa_system_sgpr_workgroup_id_y 0
		.amdhsa_system_sgpr_workgroup_id_z 0
		.amdhsa_system_sgpr_workgroup_info 0
		.amdhsa_system_vgpr_workitem_id 0
		.amdhsa_next_free_vgpr 131
		.amdhsa_next_free_sgpr 14
		.amdhsa_reserve_vcc 1
		.amdhsa_reserve_flat_scratch 0
		.amdhsa_float_round_mode_32 0
		.amdhsa_float_round_mode_16_64 0
		.amdhsa_float_denorm_mode_32 3
		.amdhsa_float_denorm_mode_16_64 3
		.amdhsa_dx10_clamp 1
		.amdhsa_ieee_mode 1
		.amdhsa_fp16_overflow 0
		.amdhsa_exception_fp_ieee_invalid_op 0
		.amdhsa_exception_fp_denorm_src 0
		.amdhsa_exception_fp_ieee_div_zero 0
		.amdhsa_exception_fp_ieee_overflow 0
		.amdhsa_exception_fp_ieee_underflow 0
		.amdhsa_exception_fp_ieee_inexact 0
		.amdhsa_exception_int_div_zero 0
	.end_amdhsa_kernel
	.text
.Lfunc_end0:
	.size	fft_rtc_back_len52_factors_4_13_wgs_117_tpt_13_halfLds_dim1_sp_op_CI_CI_unitstride_sbrr_R2C_dirReg, .Lfunc_end0-fft_rtc_back_len52_factors_4_13_wgs_117_tpt_13_halfLds_dim1_sp_op_CI_CI_unitstride_sbrr_R2C_dirReg
                                        ; -- End function
	.section	.AMDGPU.csdata,"",@progbits
; Kernel info:
; codeLenInByte = 4536
; NumSgprs: 18
; NumVgprs: 131
; ScratchSize: 0
; MemoryBound: 0
; FloatMode: 240
; IeeeMode: 1
; LDSByteSize: 0 bytes/workgroup (compile time only)
; SGPRBlocks: 2
; VGPRBlocks: 32
; NumSGPRsForWavesPerEU: 18
; NumVGPRsForWavesPerEU: 131
; Occupancy: 1
; WaveLimiterHint : 1
; COMPUTE_PGM_RSRC2:SCRATCH_EN: 0
; COMPUTE_PGM_RSRC2:USER_SGPR: 6
; COMPUTE_PGM_RSRC2:TRAP_HANDLER: 0
; COMPUTE_PGM_RSRC2:TGID_X_EN: 1
; COMPUTE_PGM_RSRC2:TGID_Y_EN: 0
; COMPUTE_PGM_RSRC2:TGID_Z_EN: 0
; COMPUTE_PGM_RSRC2:TIDIG_COMP_CNT: 0
	.type	__hip_cuid_28107249b1071553,@object ; @__hip_cuid_28107249b1071553
	.section	.bss,"aw",@nobits
	.globl	__hip_cuid_28107249b1071553
__hip_cuid_28107249b1071553:
	.byte	0                               ; 0x0
	.size	__hip_cuid_28107249b1071553, 1

	.ident	"AMD clang version 19.0.0git (https://github.com/RadeonOpenCompute/llvm-project roc-6.4.0 25133 c7fe45cf4b819c5991fe208aaa96edf142730f1d)"
	.section	".note.GNU-stack","",@progbits
	.addrsig
	.addrsig_sym __hip_cuid_28107249b1071553
	.amdgpu_metadata
---
amdhsa.kernels:
  - .args:
      - .actual_access:  read_only
        .address_space:  global
        .offset:         0
        .size:           8
        .value_kind:     global_buffer
      - .actual_access:  read_only
        .address_space:  global
        .offset:         8
        .size:           8
        .value_kind:     global_buffer
      - .actual_access:  read_only
        .address_space:  global
        .offset:         16
        .size:           8
        .value_kind:     global_buffer
      - .actual_access:  read_only
        .address_space:  global
        .offset:         24
        .size:           8
        .value_kind:     global_buffer
      - .offset:         32
        .size:           8
        .value_kind:     by_value
      - .actual_access:  read_only
        .address_space:  global
        .offset:         40
        .size:           8
        .value_kind:     global_buffer
      - .actual_access:  read_only
        .address_space:  global
        .offset:         48
        .size:           8
        .value_kind:     global_buffer
      - .offset:         56
        .size:           4
        .value_kind:     by_value
      - .actual_access:  read_only
        .address_space:  global
        .offset:         64
        .size:           8
        .value_kind:     global_buffer
      - .actual_access:  read_only
        .address_space:  global
        .offset:         72
        .size:           8
        .value_kind:     global_buffer
      - .actual_access:  read_only
        .address_space:  global
        .offset:         80
        .size:           8
        .value_kind:     global_buffer
      - .actual_access:  write_only
        .address_space:  global
        .offset:         88
        .size:           8
        .value_kind:     global_buffer
    .group_segment_fixed_size: 0
    .kernarg_segment_align: 8
    .kernarg_segment_size: 96
    .language:       OpenCL C
    .language_version:
      - 2
      - 0
    .max_flat_workgroup_size: 117
    .name:           fft_rtc_back_len52_factors_4_13_wgs_117_tpt_13_halfLds_dim1_sp_op_CI_CI_unitstride_sbrr_R2C_dirReg
    .private_segment_fixed_size: 0
    .sgpr_count:     18
    .sgpr_spill_count: 0
    .symbol:         fft_rtc_back_len52_factors_4_13_wgs_117_tpt_13_halfLds_dim1_sp_op_CI_CI_unitstride_sbrr_R2C_dirReg.kd
    .uniform_work_group_size: 1
    .uses_dynamic_stack: false
    .vgpr_count:     131
    .vgpr_spill_count: 0
    .wavefront_size: 64
amdhsa.target:   amdgcn-amd-amdhsa--gfx906
amdhsa.version:
  - 1
  - 2
...

	.end_amdgpu_metadata
